;; amdgpu-corpus repo=ROCm/rocFFT kind=compiled arch=gfx1201 opt=O3
	.text
	.amdgcn_target "amdgcn-amd-amdhsa--gfx1201"
	.amdhsa_code_object_version 6
	.protected	fft_rtc_fwd_len80_factors_10_8_wgs_160_tpt_10_half_op_CI_CI_sbcc_twdbase6_3step ; -- Begin function fft_rtc_fwd_len80_factors_10_8_wgs_160_tpt_10_half_op_CI_CI_sbcc_twdbase6_3step
	.globl	fft_rtc_fwd_len80_factors_10_8_wgs_160_tpt_10_half_op_CI_CI_sbcc_twdbase6_3step
	.p2align	8
	.type	fft_rtc_fwd_len80_factors_10_8_wgs_160_tpt_10_half_op_CI_CI_sbcc_twdbase6_3step,@function
fft_rtc_fwd_len80_factors_10_8_wgs_160_tpt_10_half_op_CI_CI_sbcc_twdbase6_3step: ; @fft_rtc_fwd_len80_factors_10_8_wgs_160_tpt_10_half_op_CI_CI_sbcc_twdbase6_3step
; %bb.0:
	s_clause 0x2
	s_load_b64 s[22:23], s[0:1], 0x0
	s_load_b256 s[4:11], s[0:1], 0x8
	s_load_b64 s[26:27], s[0:1], 0x28
	s_mov_b32 s3, exec_lo
	v_cmpx_gt_u32_e32 0xc0, v0
	s_cbranch_execz .LBB0_3
; %bb.1:
	v_lshlrev_b32_e32 v5, 2, v0
	v_add_co_u32 v1, s2, 0xffffff60, v0
	s_delay_alu instid0(VALU_DEP_1) | instskip(SKIP_1) | instid1(VALU_DEP_3)
	v_add_co_ci_u32_e64 v2, null, 0, -1, s2
	s_wait_kmcnt 0x0
	v_add_co_u32 v3, s2, s4, v5
	s_wait_alu 0xf1ff
	v_add_co_ci_u32_e64 v4, null, s5, 0, s2
	v_add3_u32 v5, v5, 0, 0x1400
	s_mov_b32 s4, 0
.LBB0_2:                                ; =>This Inner Loop Header: Depth=1
	global_load_b32 v6, v[3:4], off
	v_add_co_u32 v1, vcc_lo, 0xa0, v1
	s_wait_alu 0xfffd
	v_add_co_ci_u32_e32 v2, vcc_lo, 0, v2, vcc_lo
	v_add_co_u32 v3, vcc_lo, 0x280, v3
	s_wait_alu 0xfffd
	v_add_co_ci_u32_e32 v4, vcc_lo, 0, v4, vcc_lo
	s_delay_alu instid0(VALU_DEP_3) | instskip(SKIP_1) | instid1(VALU_DEP_1)
	v_cmp_lt_u64_e64 s2, 31, v[1:2]
	s_wait_alu 0xfffe
	s_or_b32 s4, s2, s4
	s_wait_loadcnt 0x0
	ds_store_b32 v5, v6
	v_add_nc_u32_e32 v5, 0x280, v5
	s_wait_alu 0xfffe
	s_and_not1_b32 exec_lo, exec_lo, s4
	s_cbranch_execnz .LBB0_2
.LBB0_3:
	s_or_b32 exec_lo, exec_lo, s3
	s_wait_kmcnt 0x0
	s_load_b64 s[28:29], s[8:9], 0x8
	s_load_b128 s[12:15], s[0:1], 0x60
	s_mov_b32 s36, ttmp9
	s_mov_b32 s37, 0
	s_mov_b64 s[20:21], 0
	s_wait_kmcnt 0x0
	s_add_nc_u64 s[0:1], s[28:29], -1
	s_delay_alu instid0(SALU_CYCLE_1) | instskip(NEXT) | instid1(SALU_CYCLE_1)
	s_lshr_b64 s[0:1], s[0:1], 4
	s_add_nc_u64 s[34:35], s[0:1], 1
	s_delay_alu instid0(SALU_CYCLE_1) | instskip(NEXT) | instid1(VALU_DEP_1)
	v_cmp_lt_u64_e64 s0, s[36:37], s[34:35]
	s_and_b32 vcc_lo, exec_lo, s0
	s_wait_alu 0xfffe
	s_cbranch_vccnz .LBB0_5
; %bb.4:
	v_cvt_f32_u32_e32 v1, s34
	s_sub_co_i32 s1, 0, s34
	s_mov_b32 s21, s37
	s_delay_alu instid0(VALU_DEP_1) | instskip(NEXT) | instid1(TRANS32_DEP_1)
	v_rcp_iflag_f32_e32 v1, v1
	v_mul_f32_e32 v1, 0x4f7ffffe, v1
	s_delay_alu instid0(VALU_DEP_1) | instskip(NEXT) | instid1(VALU_DEP_1)
	v_cvt_u32_f32_e32 v1, v1
	v_readfirstlane_b32 s0, v1
	s_delay_alu instid0(VALU_DEP_1) | instskip(NEXT) | instid1(SALU_CYCLE_1)
	s_mul_i32 s1, s1, s0
	s_mul_hi_u32 s1, s0, s1
	s_delay_alu instid0(SALU_CYCLE_1) | instskip(NEXT) | instid1(SALU_CYCLE_1)
	s_add_co_i32 s0, s0, s1
	s_mul_hi_u32 s0, s36, s0
	s_delay_alu instid0(SALU_CYCLE_1) | instskip(SKIP_2) | instid1(SALU_CYCLE_1)
	s_mul_i32 s1, s0, s34
	s_add_co_i32 s2, s0, 1
	s_sub_co_i32 s1, s36, s1
	s_sub_co_i32 s3, s1, s34
	s_cmp_ge_u32 s1, s34
	s_wait_alu 0xfffe
	s_cselect_b32 s0, s2, s0
	s_cselect_b32 s1, s3, s1
	s_add_co_i32 s2, s0, 1
	s_cmp_ge_u32 s1, s34
	s_wait_alu 0xfffe
	s_cselect_b32 s20, s2, s0
.LBB0_5:
	s_load_b128 s[16:19], s[10:11], 0x0
	s_load_b128 s[0:3], s[26:27], 0x0
	v_cmp_lt_u64_e64 s30, s[6:7], 3
	s_mul_u64 s[4:5], s[20:21], s[34:35]
	s_wait_alu 0xfffe
	s_sub_nc_u64 s[4:5], s[36:37], s[4:5]
	s_wait_alu 0xfffe
	s_lshl_b64 s[24:25], s[4:5], 4
	s_and_b32 vcc_lo, exec_lo, s30
	s_wait_kmcnt 0x0
	s_mul_u64 s[30:31], s[18:19], s[24:25]
	s_mul_u64 s[4:5], s[2:3], s[24:25]
	s_wait_alu 0xfffe
	s_cbranch_vccnz .LBB0_15
; %bb.6:
	s_add_nc_u64 s[38:39], s[26:27], 16
	s_add_nc_u64 s[40:41], s[10:11], 16
	;; [unrolled: 1-line block ×3, first 2 shown]
	s_mov_b64 s[42:43], 2
	s_mov_b32 s44, 0
.LBB0_7:                                ; =>This Inner Loop Header: Depth=1
	s_load_b64 s[46:47], s[8:9], 0x0
                                        ; implicit-def: $sgpr50_sgpr51
	s_wait_kmcnt 0x0
	s_or_b64 s[48:49], s[20:21], s[46:47]
	s_delay_alu instid0(SALU_CYCLE_1)
	s_mov_b32 s45, s49
	s_mov_b32 s49, -1
	s_cmp_lg_u64 s[44:45], 0
	s_cbranch_scc0 .LBB0_9
; %bb.8:                                ;   in Loop: Header=BB0_7 Depth=1
	s_cvt_f32_u32 s33, s46
	s_cvt_f32_u32 s45, s47
	s_sub_nc_u64 s[52:53], 0, s[46:47]
	s_mov_b32 s49, 0
	s_mov_b32 s57, s44
	s_wait_alu 0xfffe
	s_fmamk_f32 s33, s45, 0x4f800000, s33
	s_wait_alu 0xfffe
	s_delay_alu instid0(SALU_CYCLE_2) | instskip(NEXT) | instid1(TRANS32_DEP_1)
	v_s_rcp_f32 s33, s33
	s_mul_f32 s33, s33, 0x5f7ffffc
	s_wait_alu 0xfffe
	s_delay_alu instid0(SALU_CYCLE_2) | instskip(NEXT) | instid1(SALU_CYCLE_3)
	s_mul_f32 s45, s33, 0x2f800000
	s_trunc_f32 s45, s45
	s_delay_alu instid0(SALU_CYCLE_3) | instskip(SKIP_2) | instid1(SALU_CYCLE_1)
	s_fmamk_f32 s33, s45, 0xcf800000, s33
	s_cvt_u32_f32 s51, s45
	s_wait_alu 0xfffe
	s_cvt_u32_f32 s50, s33
	s_wait_alu 0xfffe
	s_delay_alu instid0(SALU_CYCLE_2)
	s_mul_u64 s[54:55], s[52:53], s[50:51]
	s_wait_alu 0xfffe
	s_mul_hi_u32 s59, s50, s55
	s_mul_i32 s58, s50, s55
	s_mul_hi_u32 s48, s50, s54
	s_mul_i32 s45, s51, s54
	s_add_nc_u64 s[58:59], s[48:49], s[58:59]
	s_mul_hi_u32 s33, s51, s54
	s_mul_hi_u32 s60, s51, s55
	s_add_co_u32 s45, s58, s45
	s_wait_alu 0xfffe
	s_add_co_ci_u32 s56, s59, s33
	s_mul_i32 s54, s51, s55
	s_add_co_ci_u32 s55, s60, 0
	s_wait_alu 0xfffe
	s_add_nc_u64 s[54:55], s[56:57], s[54:55]
	s_wait_alu 0xfffe
	v_add_co_u32 v1, s33, s50, s54
	s_delay_alu instid0(VALU_DEP_1) | instskip(SKIP_1) | instid1(VALU_DEP_1)
	s_cmp_lg_u32 s33, 0
	s_add_co_ci_u32 s51, s51, s55
	v_readfirstlane_b32 s50, v1
	s_mov_b32 s55, s44
	s_wait_alu 0xfffe
	s_delay_alu instid0(VALU_DEP_1)
	s_mul_u64 s[52:53], s[52:53], s[50:51]
	s_wait_alu 0xfffe
	s_mul_hi_u32 s57, s50, s53
	s_mul_i32 s56, s50, s53
	s_mul_hi_u32 s48, s50, s52
	s_mul_i32 s45, s51, s52
	s_add_nc_u64 s[56:57], s[48:49], s[56:57]
	s_mul_hi_u32 s33, s51, s52
	s_mul_hi_u32 s50, s51, s53
	s_add_co_u32 s45, s56, s45
	s_wait_alu 0xfffe
	s_add_co_ci_u32 s54, s57, s33
	s_mul_i32 s52, s51, s53
	s_add_co_ci_u32 s53, s50, 0
	s_wait_alu 0xfffe
	s_add_nc_u64 s[52:53], s[54:55], s[52:53]
	s_wait_alu 0xfffe
	v_add_co_u32 v1, s33, v1, s52
	s_delay_alu instid0(VALU_DEP_1) | instskip(SKIP_1) | instid1(VALU_DEP_1)
	s_cmp_lg_u32 s33, 0
	s_add_co_ci_u32 s33, s51, s53
	v_readfirstlane_b32 s45, v1
	s_wait_alu 0xfffe
	s_mul_hi_u32 s51, s20, s33
	s_mul_i32 s50, s20, s33
	s_mul_hi_u32 s53, s21, s33
	s_mul_i32 s52, s21, s33
	s_mul_hi_u32 s48, s20, s45
	s_mul_i32 s33, s21, s45
	s_wait_alu 0xfffe
	s_add_nc_u64 s[50:51], s[48:49], s[50:51]
	s_mul_hi_u32 s45, s21, s45
	s_wait_alu 0xfffe
	s_add_co_u32 s33, s50, s33
	s_add_co_ci_u32 s54, s51, s45
	s_add_co_ci_u32 s53, s53, 0
	s_wait_alu 0xfffe
	s_add_nc_u64 s[50:51], s[54:55], s[52:53]
	s_wait_alu 0xfffe
	s_mul_u64 s[52:53], s[46:47], s[50:51]
	s_add_nc_u64 s[54:55], s[50:51], 1
	s_wait_alu 0xfffe
	v_sub_co_u32 v1, s33, s20, s52
	s_sub_co_i32 s45, s21, s53
	s_cmp_lg_u32 s33, 0
	s_add_nc_u64 s[56:57], s[50:51], 2
	s_delay_alu instid0(VALU_DEP_1) | instskip(SKIP_2) | instid1(VALU_DEP_1)
	v_sub_co_u32 v2, s48, v1, s46
	s_sub_co_ci_u32 s45, s45, s47
	s_cmp_lg_u32 s48, 0
	v_readfirstlane_b32 s48, v2
	s_sub_co_ci_u32 s45, s45, 0
	s_delay_alu instid0(SALU_CYCLE_1) | instskip(SKIP_1) | instid1(VALU_DEP_1)
	s_cmp_ge_u32 s45, s47
	s_cselect_b32 s52, -1, 0
	s_cmp_ge_u32 s48, s46
	s_cselect_b32 s48, -1, 0
	s_cmp_eq_u32 s45, s47
	s_wait_alu 0xfffe
	s_cselect_b32 s45, s48, s52
	s_delay_alu instid0(SALU_CYCLE_1)
	s_cmp_lg_u32 s45, 0
	s_cselect_b32 s45, s56, s54
	s_cselect_b32 s48, s57, s55
	s_cmp_lg_u32 s33, 0
	v_readfirstlane_b32 s33, v1
	s_sub_co_ci_u32 s52, s21, s53
	s_wait_alu 0xfffe
	s_cmp_ge_u32 s52, s47
	s_cselect_b32 s53, -1, 0
	s_cmp_ge_u32 s33, s46
	s_cselect_b32 s33, -1, 0
	s_cmp_eq_u32 s52, s47
	s_wait_alu 0xfffe
	s_cselect_b32 s33, s33, s53
	s_wait_alu 0xfffe
	s_cmp_lg_u32 s33, 0
	s_cselect_b32 s51, s48, s51
	s_cselect_b32 s50, s45, s50
.LBB0_9:                                ;   in Loop: Header=BB0_7 Depth=1
	s_and_not1_b32 vcc_lo, exec_lo, s49
	s_wait_alu 0xfffe
	s_cbranch_vccnz .LBB0_11
; %bb.10:                               ;   in Loop: Header=BB0_7 Depth=1
	v_cvt_f32_u32_e32 v1, s46
	s_sub_co_i32 s45, 0, s46
	s_mov_b32 s51, s44
	s_delay_alu instid0(VALU_DEP_1) | instskip(NEXT) | instid1(TRANS32_DEP_1)
	v_rcp_iflag_f32_e32 v1, v1
	v_mul_f32_e32 v1, 0x4f7ffffe, v1
	s_delay_alu instid0(VALU_DEP_1) | instskip(NEXT) | instid1(VALU_DEP_1)
	v_cvt_u32_f32_e32 v1, v1
	v_readfirstlane_b32 s33, v1
	s_delay_alu instid0(VALU_DEP_1) | instskip(NEXT) | instid1(SALU_CYCLE_1)
	s_mul_i32 s45, s45, s33
	s_mul_hi_u32 s45, s33, s45
	s_delay_alu instid0(SALU_CYCLE_1)
	s_add_co_i32 s33, s33, s45
	s_wait_alu 0xfffe
	s_mul_hi_u32 s33, s20, s33
	s_wait_alu 0xfffe
	s_mul_i32 s45, s33, s46
	s_add_co_i32 s48, s33, 1
	s_sub_co_i32 s45, s20, s45
	s_delay_alu instid0(SALU_CYCLE_1)
	s_sub_co_i32 s49, s45, s46
	s_cmp_ge_u32 s45, s46
	s_cselect_b32 s33, s48, s33
	s_cselect_b32 s45, s49, s45
	s_wait_alu 0xfffe
	s_add_co_i32 s48, s33, 1
	s_cmp_ge_u32 s45, s46
	s_cselect_b32 s50, s48, s33
.LBB0_11:                               ;   in Loop: Header=BB0_7 Depth=1
	s_load_b64 s[48:49], s[40:41], 0x0
	s_load_b64 s[52:53], s[38:39], 0x0
	s_add_nc_u64 s[42:43], s[42:43], 1
	s_mul_u64 s[34:35], s[46:47], s[34:35]
	s_wait_alu 0xfffe
	v_cmp_ge_u64_e64 s33, s[42:43], s[6:7]
	s_mul_u64 s[46:47], s[50:51], s[46:47]
	s_add_nc_u64 s[38:39], s[38:39], 8
	s_wait_alu 0xfffe
	s_sub_nc_u64 s[20:21], s[20:21], s[46:47]
	s_add_nc_u64 s[40:41], s[40:41], 8
	s_add_nc_u64 s[8:9], s[8:9], 8
	s_and_b32 vcc_lo, exec_lo, s33
	s_wait_kmcnt 0x0
	s_wait_alu 0xfffe
	s_mul_u64 s[46:47], s[48:49], s[20:21]
	s_mul_u64 s[20:21], s[52:53], s[20:21]
	s_wait_alu 0xfffe
	s_add_nc_u64 s[30:31], s[46:47], s[30:31]
	s_add_nc_u64 s[4:5], s[20:21], s[4:5]
	s_cbranch_vccnz .LBB0_13
; %bb.12:                               ;   in Loop: Header=BB0_7 Depth=1
	s_mov_b64 s[20:21], s[50:51]
	s_branch .LBB0_7
.LBB0_13:
	v_cmp_lt_u64_e64 s8, s[36:37], s[34:35]
	s_mov_b64 s[20:21], 0
	s_delay_alu instid0(VALU_DEP_1)
	s_and_b32 vcc_lo, exec_lo, s8
	s_wait_alu 0xfffe
	s_cbranch_vccnz .LBB0_15
; %bb.14:
	v_cvt_f32_u32_e32 v1, s34
	s_sub_co_i32 s9, 0, s34
	s_delay_alu instid0(VALU_DEP_1) | instskip(NEXT) | instid1(TRANS32_DEP_1)
	v_rcp_iflag_f32_e32 v1, v1
	v_mul_f32_e32 v1, 0x4f7ffffe, v1
	s_delay_alu instid0(VALU_DEP_1) | instskip(NEXT) | instid1(VALU_DEP_1)
	v_cvt_u32_f32_e32 v1, v1
	v_readfirstlane_b32 s8, v1
	s_delay_alu instid0(VALU_DEP_1) | instskip(NEXT) | instid1(SALU_CYCLE_1)
	s_mul_i32 s9, s9, s8
	s_mul_hi_u32 s9, s8, s9
	s_delay_alu instid0(SALU_CYCLE_1) | instskip(NEXT) | instid1(SALU_CYCLE_1)
	s_add_co_i32 s8, s8, s9
	s_mul_hi_u32 s8, s36, s8
	s_delay_alu instid0(SALU_CYCLE_1) | instskip(SKIP_2) | instid1(SALU_CYCLE_1)
	s_mul_i32 s9, s8, s34
	s_add_co_i32 s20, s8, 1
	s_sub_co_i32 s9, s36, s9
	s_sub_co_i32 s21, s9, s34
	s_cmp_ge_u32 s9, s34
	s_wait_alu 0xfffe
	s_cselect_b32 s8, s20, s8
	s_cselect_b32 s9, s21, s9
	s_add_co_i32 s20, s8, 1
	s_cmp_ge_u32 s9, s34
	s_mov_b32 s21, 0
	s_wait_alu 0xfffe
	s_cselect_b32 s20, s20, s8
.LBB0_15:
	v_and_b32_e32 v16, 15, v0
	v_lshrrev_b32_e32 v15, 4, v0
	v_mov_b32_e32 v2, s25
	s_add_nc_u64 s[8:9], s[24:25], 16
	s_lshl_b64 s[6:7], s[6:7], 3
	v_or_b32_e32 v1, s24, v16
	v_add_nc_u32_e32 v13, 20, v15
	v_cmp_le_u64_e64 s8, s[8:9], s[28:29]
	v_mul_u32_u24_e32 v17, 0x140, v16
	v_lshlrev_b32_e32 v18, 2, v15
	v_cmp_gt_u64_e32 vcc_lo, s[28:29], v[1:2]
	v_add_nc_u32_e32 v14, 10, v15
	v_add_nc_u32_e32 v12, 30, v15
	;; [unrolled: 1-line block ×6, first 2 shown]
	s_or_b32 s8, s8, vcc_lo
	s_wait_alu 0xfffe
	s_and_saveexec_b32 s9, s8
	s_cbranch_execz .LBB0_17
; %bb.16:
	v_mad_co_u64_u32 v[1:2], null, s18, v16, 0
	v_mad_co_u64_u32 v[3:4], null, s16, v15, 0
	s_add_nc_u64 s[10:11], s[10:11], s[6:7]
	v_mad_co_u64_u32 v[5:6], null, s16, v14, 0
	s_load_b64 s[10:11], s[10:11], 0x0
	v_mad_co_u64_u32 v[27:28], null, s16, v9, 0
	s_delay_alu instid0(VALU_DEP_3) | instskip(SKIP_1) | instid1(VALU_DEP_4)
	v_mad_co_u64_u32 v[19:20], null, s19, v16, v[2:3]
	v_mad_co_u64_u32 v[20:21], null, s16, v13, 0
	;; [unrolled: 1-line block ×3, first 2 shown]
	s_lshl_b64 s[18:19], s[30:31], 2
	s_delay_alu instid0(VALU_DEP_2) | instskip(NEXT) | instid1(VALU_DEP_2)
	v_dual_mov_b32 v2, v19 :: v_dual_mov_b32 v7, v21
	v_mov_b32_e32 v4, v22
	s_delay_alu instid0(VALU_DEP_2) | instskip(NEXT) | instid1(VALU_DEP_3)
	v_lshlrev_b64_e32 v[1:2], 2, v[1:2]
	v_mad_co_u64_u32 v[21:22], null, s17, v14, v[6:7]
	v_mad_co_u64_u32 v[22:23], null, s17, v13, v[7:8]
	s_wait_kmcnt 0x0
	s_mul_u64 s[10:11], s[10:11], s[20:21]
	s_delay_alu instid0(SALU_CYCLE_1) | instskip(NEXT) | instid1(SALU_CYCLE_1)
	s_lshl_b64 s[10:11], s[10:11], 2
	s_add_nc_u64 s[10:11], s[12:13], s[10:11]
	s_delay_alu instid0(VALU_DEP_2)
	v_mov_b32_e32 v6, v21
	s_wait_alu 0xfffe
	s_add_nc_u64 s[10:11], s[10:11], s[18:19]
	v_mov_b32_e32 v21, v22
	v_lshlrev_b64_e32 v[3:4], 2, v[3:4]
	v_add_co_u32 v32, vcc_lo, s10, v1
	s_wait_alu 0xfffd
	v_add_co_ci_u32_e32 v33, vcc_lo, s11, v2, vcc_lo
	v_mad_co_u64_u32 v[1:2], null, s16, v12, 0
	s_delay_alu instid0(VALU_DEP_3)
	v_add_co_u32 v3, vcc_lo, v32, v3
	v_mad_co_u64_u32 v[22:23], null, s16, v11, 0
	v_lshlrev_b64_e32 v[19:20], 2, v[20:21]
	s_wait_alu 0xfffd
	v_add_co_ci_u32_e32 v4, vcc_lo, v33, v4, vcc_lo
	v_mad_co_u64_u32 v[24:25], null, s17, v12, v[2:3]
	v_mad_co_u64_u32 v[25:26], null, s16, v10, 0
	v_mov_b32_e32 v7, v23
	v_lshlrev_b64_e32 v[5:6], 2, v[5:6]
	s_delay_alu instid0(VALU_DEP_4) | instskip(NEXT) | instid1(VALU_DEP_3)
	v_mov_b32_e32 v2, v24
	v_mad_co_u64_u32 v[23:24], null, s17, v11, v[7:8]
	v_mov_b32_e32 v21, v26
	s_delay_alu instid0(VALU_DEP_4) | instskip(NEXT) | instid1(VALU_DEP_4)
	v_add_co_u32 v5, vcc_lo, v32, v5
	v_lshlrev_b64_e32 v[1:2], 2, v[1:2]
	s_wait_alu 0xfffd
	v_add_co_ci_u32_e32 v6, vcc_lo, v33, v6, vcc_lo
	v_mad_co_u64_u32 v[29:30], null, s17, v10, v[21:22]
	v_mad_co_u64_u32 v[30:31], null, s16, v8, 0
	v_mov_b32_e32 v7, v28
	v_lshlrev_b64_e32 v[21:22], 2, v[22:23]
	v_add_co_u32 v19, vcc_lo, v32, v19
	v_mov_b32_e32 v26, v29
	s_delay_alu instid0(VALU_DEP_4) | instskip(SKIP_4) | instid1(VALU_DEP_3)
	v_mad_co_u64_u32 v[28:29], null, s17, v9, v[7:8]
	v_mov_b32_e32 v7, v31
	s_wait_alu 0xfffd
	v_add_co_ci_u32_e32 v20, vcc_lo, v33, v20, vcc_lo
	v_add_co_u32 v1, vcc_lo, v32, v1
	v_mad_co_u64_u32 v[23:24], null, s17, v8, v[7:8]
	v_lshlrev_b64_e32 v[24:25], 2, v[25:26]
	s_wait_alu 0xfffd
	v_add_co_ci_u32_e32 v2, vcc_lo, v33, v2, vcc_lo
	v_add_co_u32 v21, vcc_lo, v32, v21
	v_lshlrev_b64_e32 v[26:27], 2, v[27:28]
	v_mov_b32_e32 v31, v23
	s_wait_alu 0xfffd
	v_add_co_ci_u32_e32 v22, vcc_lo, v33, v22, vcc_lo
	v_add_co_u32 v23, vcc_lo, v32, v24
	s_delay_alu instid0(VALU_DEP_3)
	v_lshlrev_b64_e32 v[28:29], 2, v[30:31]
	s_wait_alu 0xfffd
	v_add_co_ci_u32_e32 v24, vcc_lo, v33, v25, vcc_lo
	v_add_co_u32 v25, vcc_lo, v32, v26
	s_wait_alu 0xfffd
	v_add_co_ci_u32_e32 v26, vcc_lo, v33, v27, vcc_lo
	v_add_co_u32 v27, vcc_lo, v32, v28
	s_wait_alu 0xfffd
	v_add_co_ci_u32_e32 v28, vcc_lo, v33, v29, vcc_lo
	s_clause 0x7
	global_load_b32 v3, v[3:4], off
	global_load_b32 v4, v[5:6], off
	;; [unrolled: 1-line block ×8, first 2 shown]
	v_add3_u32 v20, 0, v17, v18
	s_wait_loadcnt 0x6
	ds_store_2addr_b32 v20, v3, v4 offset1:10
	s_wait_loadcnt 0x4
	ds_store_2addr_b32 v20, v5, v1 offset0:20 offset1:30
	s_wait_loadcnt 0x2
	ds_store_2addr_b32 v20, v2, v6 offset0:40 offset1:50
	;; [unrolled: 2-line block ×3, first 2 shown]
.LBB0_17:
	s_wait_alu 0xfffe
	s_or_b32 exec_lo, exec_lo, s9
	v_mul_hi_u32 v21, 0x1999999a, v0
	global_wb scope:SCOPE_SE
	s_wait_dscnt 0x0
	s_barrier_signal -1
	s_barrier_wait -1
	global_inv scope:SCOPE_SE
	s_add_nc_u64 s[6:7], s[26:27], s[6:7]
	s_mov_b32 s9, exec_lo
	v_mul_u32_u24_e32 v1, 10, v21
	v_and_b32_e32 v2, 15, v21
	s_delay_alu instid0(VALU_DEP_2) | instskip(NEXT) | instid1(VALU_DEP_2)
	v_sub_nc_u32_e32 v22, v0, v1
	v_mul_u32_u24_e32 v0, 0x50, v2
	s_delay_alu instid0(VALU_DEP_2) | instskip(NEXT) | instid1(VALU_DEP_2)
	v_lshlrev_b32_e32 v1, 2, v22
	v_lshlrev_b32_e32 v23, 2, v0
	s_delay_alu instid0(VALU_DEP_2) | instskip(NEXT) | instid1(VALU_DEP_2)
	v_add_nc_u32_e32 v24, 0, v1
	v_add3_u32 v20, 0, v23, v1
	s_delay_alu instid0(VALU_DEP_2)
	v_add_nc_u32_e32 v19, v24, v23
	ds_load_2addr_b32 v[6:7], v19 offset0:8 offset1:16
	ds_load_2addr_b32 v[4:5], v19 offset0:24 offset1:32
	;; [unrolled: 1-line block ×4, first 2 shown]
	ds_load_b32 v25, v20
	ds_load_b32 v26, v19 offset:288
	global_wb scope:SCOPE_SE
	s_wait_dscnt 0x0
	s_barrier_signal -1
	s_barrier_wait -1
	global_inv scope:SCOPE_SE
	v_cmpx_gt_u32_e32 8, v22
	s_cbranch_execz .LBB0_19
; %bb.18:
	v_add_f16_e32 v38, v2, v0
	v_lshrrev_b32_e32 v39, 16, v4
	v_lshrrev_b32_e32 v42, 16, v26
	;; [unrolled: 1-line block ×6, first 2 shown]
	v_sub_f16_e32 v43, v26, v0
	v_sub_f16_e32 v50, v4, v2
	v_fma_f16 v38, -0.5, v38, v6
	v_sub_f16_e32 v45, v39, v42
	v_add_f16_e32 v32, v28, v29
	v_lshrrev_b32_e32 v33, 16, v25
	v_add_f16_e32 v40, v35, v36
	v_lshrrev_b32_e32 v41, 16, v6
	v_add_f16_e32 v43, v50, v43
	v_add_f16_e32 v50, v39, v42
	;; [unrolled: 1-line block ×3, first 2 shown]
	v_fmamk_f16 v51, v45, 0xbb9c, v38
	v_sub_f16_e32 v52, v35, v36
	v_fmac_f16_e32 v38, 0x3b9c, v45
	v_lshrrev_b32_e32 v27, 16, v7
	v_lshrrev_b32_e32 v30, 16, v1
	v_sub_f16_e32 v37, v7, v1
	v_fma_f16 v32, -0.5, v32, v33
	v_sub_f16_e32 v44, v4, v26
	v_fma_f16 v40, -0.5, v40, v41
	v_sub_f16_e32 v46, v39, v35
	v_sub_f16_e32 v47, v42, v36
	v_fmac_f16_e32 v41, -0.5, v50
	v_fma_f16 v50, -0.5, v55, v6
	v_fmac_f16_e32 v51, 0xb8b4, v52
	v_fmac_f16_e32 v38, 0x38b4, v52
	v_sub_f16_e32 v31, v27, v28
	v_sub_f16_e32 v34, v30, v29
	;; [unrolled: 1-line block ×3, first 2 shown]
	v_fmamk_f16 v49, v44, 0x3b9c, v40
	v_add_f16_e32 v46, v46, v47
	v_sub_f16_e32 v47, v5, v3
	v_fmamk_f16 v53, v37, 0x3b9c, v32
	v_add_f16_e32 v54, v27, v30
	v_fmamk_f16 v55, v52, 0x3b9c, v50
	v_fmac_f16_e32 v50, 0xbb9c, v52
	v_fmac_f16_e32 v40, 0xbb9c, v44
	v_fmac_f16_e32 v32, 0xbb9c, v37
	v_fmac_f16_e32 v51, 0x34f2, v43
	v_fmac_f16_e32 v38, 0x34f2, v43
	v_add_f16_e32 v43, v5, v3
	v_fmac_f16_e32 v49, 0x38b4, v48
	v_add_f16_e32 v31, v31, v34
	v_fmac_f16_e32 v53, 0x38b4, v47
	v_fmac_f16_e32 v33, -0.5, v54
	v_sub_f16_e32 v35, v35, v39
	v_sub_f16_e32 v36, v36, v42
	v_fmamk_f16 v39, v48, 0xbb9c, v41
	v_sub_f16_e32 v42, v0, v26
	v_sub_f16_e32 v54, v2, v4
	v_fmac_f16_e32 v55, 0xb8b4, v45
	v_fmac_f16_e32 v41, 0x3b9c, v48
	;; [unrolled: 1-line block ×5, first 2 shown]
	v_add_f16_e32 v45, v7, v1
	v_sub_f16_e32 v56, v28, v27
	v_fma_f16 v43, -0.5, v43, v25
	v_sub_f16_e32 v27, v27, v30
	v_fmac_f16_e32 v49, 0x34f2, v46
	v_fmac_f16_e32 v53, 0x34f2, v31
	v_sub_f16_e32 v57, v29, v30
	v_add_f16_e32 v35, v35, v36
	v_fmac_f16_e32 v39, 0x38b4, v44
	v_add_f16_e32 v42, v54, v42
	v_fmac_f16_e32 v41, 0xb8b4, v44
	v_fmac_f16_e32 v40, 0x34f2, v46
	;; [unrolled: 1-line block ×3, first 2 shown]
	v_sub_f16_e32 v31, v1, v3
	v_sub_f16_e32 v30, v7, v5
	v_pk_add_f16 v46, v25, v7
	v_sub_f16_e32 v28, v28, v29
	v_fmac_f16_e32 v25, -0.5, v45
	v_fmamk_f16 v36, v47, 0xbb9c, v33
	v_fmac_f16_e32 v33, 0x3b9c, v47
	v_fmamk_f16 v29, v27, 0xbb9c, v43
	v_fmac_f16_e32 v43, 0x3b9c, v27
	v_pk_add_f16 v4, v6, v4
	v_fmac_f16_e32 v39, 0x34f2, v35
	v_fmac_f16_e32 v55, 0x34f2, v42
	;; [unrolled: 1-line block ×4, first 2 shown]
	v_add_f16_e32 v30, v30, v31
	v_sub_f16_e32 v31, v3, v1
	v_sub_f16_e32 v7, v5, v7
	v_fmamk_f16 v45, v28, 0x3b9c, v25
	v_mul_f16_e32 v48, 0x3a79, v51
	v_fmac_f16_e32 v25, 0xbb9c, v28
	v_fmac_f16_e32 v36, 0x38b4, v37
	;; [unrolled: 1-line block ×3, first 2 shown]
	v_mul_f16_e32 v37, 0xb8b4, v38
	v_fmac_f16_e32 v29, 0xb8b4, v28
	v_fmac_f16_e32 v43, 0x38b4, v28
	v_mul_f16_e32 v28, 0x3a79, v38
	v_pk_add_f16 v5, v46, v5
	v_pk_add_f16 v2, v4, v2
	v_mul_f16_e32 v34, 0x3a79, v49
	v_add_f16_e32 v56, v56, v57
	v_mul_f16_e32 v57, 0x34f2, v39
	v_mul_f16_e32 v35, 0xbb9c, v50
	v_add_f16_e32 v7, v7, v31
	v_fmac_f16_e32 v45, 0xb8b4, v27
	v_fma_f16 v31, v49, 0x38b4, -v48
	v_mul_f16_e32 v48, 0x34f2, v55
	v_fmac_f16_e32 v25, 0x38b4, v27
	v_mul_f16_e32 v27, 0x3b9c, v41
	v_fmac_f16_e32 v37, 0x3a79, v40
	v_fmac_f16_e32 v29, 0x34f2, v30
	;; [unrolled: 1-line block ×4, first 2 shown]
	v_pk_add_f16 v3, v5, v3
	v_pk_add_f16 v0, v2, v0
	v_fma_f16 v34, v51, 0xb8b4, -v34
	v_fmac_f16_e32 v36, 0x34f2, v56
	v_fma_f16 v57, v55, 0xbb9c, -v57
	v_fmac_f16_e32 v33, 0x34f2, v56
	v_fmac_f16_e32 v35, 0x34f2, v41
	;; [unrolled: 1-line block ×3, first 2 shown]
	v_fma_f16 v38, v39, 0x3b9c, -v48
	v_fmac_f16_e32 v25, 0x34f2, v7
	v_fmac_f16_e32 v27, 0x34f2, v50
	v_sub_f16_e32 v6, v29, v31
	v_add_f16_e32 v2, v32, v37
	v_add_f16_e32 v5, v29, v31
	v_mul_i32_i24_e32 v29, 36, v22
	v_pk_add_f16 v1, v3, v1
	v_pk_add_f16 v0, v0, v26
	v_add_f16_e32 v3, v43, v28
	v_sub_f16_e32 v54, v53, v34
	v_sub_f16_e32 v44, v33, v35
	;; [unrolled: 1-line block ×3, first 2 shown]
	v_add_f16_e32 v4, v53, v34
	v_add_f16_e32 v34, v36, v57
	;; [unrolled: 1-line block ×5, first 2 shown]
	v_sub_f16_e32 v47, v32, v37
	v_sub_f16_e32 v39, v43, v28
	;; [unrolled: 1-line block ×4, first 2 shown]
	v_add3_u32 v23, v24, v29, v23
	v_pk_add_f16 v24, v1, v0
	v_pack_b32_f16 v2, v3, v2
	v_pack_b32_f16 v3, v26, v34
	;; [unrolled: 1-line block ×3, first 2 shown]
	v_pk_add_f16 v0, v1, v0 neg_lo:[0,1] neg_hi:[0,1]
	v_pack_b32_f16 v1, v5, v4
	v_pack_b32_f16 v4, v39, v47
	;; [unrolled: 1-line block ×5, first 2 shown]
	ds_store_2addr_b32 v23, v24, v2 offset1:1
	ds_store_2addr_b32 v23, v25, v3 offset0:2 offset1:3
	ds_store_2addr_b32 v23, v1, v0 offset0:4 offset1:5
	;; [unrolled: 1-line block ×4, first 2 shown]
.LBB0_19:
	s_wait_alu 0xfffe
	s_or_b32 exec_lo, exec_lo, s9
	v_add_nc_u32_e32 v7, s24, v21
	v_mul_i32_i24_e32 v0, 7, v22
	s_load_b64 s[6:7], s[6:7], 0x0
	global_wb scope:SCOPE_SE
	s_wait_dscnt 0x0
	s_wait_kmcnt 0x0
	s_barrier_signal -1
	v_mul_lo_u32 v28, v7, v22
	v_mov_b32_e32 v1, 0
	s_barrier_wait -1
	global_inv scope:SCOPE_SE
	v_mul_lo_u32 v7, v7, 10
	s_add_co_i32 s9, 0, 0x1400
	v_and_b32_e32 v30, 63, v28
	v_lshlrev_b64_e32 v[0:1], 2, v[0:1]
	v_lshrrev_b32_e32 v31, 4, v28
	v_lshrrev_b32_e32 v32, 10, v28
	v_add_nc_u32_e32 v28, v28, v7
	v_lshl_add_u32 v30, v30, 2, 0
	v_add_co_u32 v4, vcc_lo, s22, v0
	s_wait_alu 0xfffd
	v_add_co_ci_u32_e32 v5, vcc_lo, s23, v1, vcc_lo
	v_and_b32_e32 v33, 63, v28
	v_lshrrev_b32_e32 v34, 4, v28
	s_clause 0x1
	global_load_b128 v[0:3], v[4:5], off
	global_load_b96 v[4:6], v[4:5], off offset:16
	v_lshrrev_b32_e32 v35, 10, v28
	v_add_nc_u32_e32 v28, v28, v7
	v_and_b32_e32 v31, 0xfc, v31
	v_and_b32_e32 v32, 0xfc, v32
	;; [unrolled: 1-line block ×3, first 2 shown]
	ds_load_b32 v27, v19 offset:280
	v_lshrrev_b32_e32 v44, 4, v28
	v_and_b32_e32 v43, 63, v28
	v_lshrrev_b32_e32 v45, 10, v28
	v_add_nc_u32_e32 v28, v28, v7
	ds_load_2addr_b32 v[21:22], v19 offset0:10 offset1:20
	ds_load_2addr_b32 v[23:24], v19 offset0:30 offset1:40
	;; [unrolled: 1-line block ×3, first 2 shown]
	ds_load_b32 v20, v20
	ds_load_u16 v29, v19 offset:242
	v_and_b32_e32 v35, 0xfc, v35
	v_and_b32_e32 v44, 0xfc, v44
	ds_load_b32 v30, v30 offset:5120
	s_wait_alu 0xfffe
	v_add_nc_u32_e32 v31, s9, v31
	v_and_b32_e32 v46, 63, v28
	v_lshrrev_b32_e32 v47, 4, v28
	v_lshrrev_b32_e32 v48, 10, v28
	v_add_nc_u32_e32 v28, v28, v7
	v_add_nc_u32_e32 v32, s9, v32
	v_lshl_add_u32 v33, v33, 2, 0
	v_add_nc_u32_e32 v34, s9, v34
	v_add_nc_u32_e32 v35, s9, v35
	v_lshl_add_u32 v43, v43, 2, 0
	v_add_nc_u32_e32 v44, s9, v44
	v_and_b32_e32 v49, 63, v28
	v_lshrrev_b32_e32 v50, 4, v28
	v_lshrrev_b32_e32 v51, 10, v28
	v_add_nc_u32_e32 v28, v28, v7
	ds_load_b32 v31, v31 offset:256
	ds_load_b32 v32, v32 offset:512
	;; [unrolled: 1-line block ×7, first 2 shown]
	v_and_b32_e32 v45, 0xfc, v45
	v_and_b32_e32 v47, 0xfc, v47
	;; [unrolled: 1-line block ×4, first 2 shown]
	v_lshrrev_b32_e32 v53, 4, v28
	v_lshrrev_b32_e32 v54, 10, v28
	v_add_nc_u32_e32 v28, v28, v7
	v_and_b32_e32 v50, 0xfc, v50
	v_and_b32_e32 v51, 0xfc, v51
	v_add_nc_u32_e32 v45, s9, v45
	v_lshl_add_u32 v46, v46, 2, 0
	v_add_nc_u32_e32 v7, v28, v7
	v_add_nc_u32_e32 v47, s9, v47
	;; [unrolled: 1-line block ×3, first 2 shown]
	v_lshl_add_u32 v49, v49, 2, 0
	v_add_nc_u32_e32 v50, s9, v50
	v_add_nc_u32_e32 v51, s9, v51
	v_lshl_add_u32 v52, v52, 2, 0
	s_wait_dscnt 0x7
	v_lshrrev_b32_e32 v55, 16, v30
	v_and_b32_e32 v56, 63, v28
	v_lshrrev_b32_e32 v57, 4, v28
	v_lshrrev_b32_e32 v58, 10, v28
	s_wait_dscnt 0x6
	v_lshrrev_b32_e32 v28, 16, v31
	ds_load_b32 v45, v45 offset:512
	ds_load_b32 v46, v46 offset:5120
	;; [unrolled: 1-line block ×8, first 2 shown]
	v_and_b32_e32 v61, 63, v7
	v_lshrrev_b32_e32 v62, 4, v7
	v_lshrrev_b32_e32 v7, 10, v7
	v_and_b32_e32 v53, 0xfc, v53
	v_and_b32_e32 v54, 0xfc, v54
	s_wait_dscnt 0xc
	v_lshrrev_b32_e32 v60, 16, v33
	v_and_b32_e32 v57, 0xfc, v57
	v_mul_f16_e32 v63, v55, v28
	v_mul_f16_e32 v28, v30, v28
	s_wait_dscnt 0xb
	v_lshrrev_b32_e32 v64, 16, v34
	v_and_b32_e32 v58, 0xfc, v58
	v_and_b32_e32 v62, 0xfc, v62
	;; [unrolled: 1-line block ×3, first 2 shown]
	v_add_nc_u32_e32 v53, s9, v53
	v_add_nc_u32_e32 v54, s9, v54
	v_lshl_add_u32 v56, v56, 2, 0
	v_lshrrev_b32_e32 v59, 16, v32
	s_wait_dscnt 0x9
	v_lshrrev_b32_e32 v66, 16, v43
	v_add_nc_u32_e32 v57, s9, v57
	v_fma_f16 v30, v30, v31, -v63
	v_fmac_f16_e32 v28, v55, v31
	v_mul_f16_e32 v31, v60, v64
	v_mul_f16_e32 v55, v33, v64
	s_wait_dscnt 0x8
	v_lshrrev_b32_e32 v63, 16, v44
	v_add_nc_u32_e32 v58, s9, v58
	v_lshl_add_u32 v61, v61, 2, 0
	v_add_nc_u32_e32 v62, s9, v62
	v_add_nc_u32_e32 v7, s9, v7
	ds_load_b32 v53, v53 offset:256
	ds_load_b32 v54, v54 offset:512
	;; [unrolled: 1-line block ×8, first 2 shown]
	v_lshrrev_b32_e32 v65, 16, v35
	s_wait_dscnt 0xe
	v_lshrrev_b32_e32 v67, 16, v46
	v_mul_f16_e32 v68, v28, v59
	v_mul_f16_e32 v59, v30, v59
	v_fma_f16 v31, v33, v34, -v31
	v_fmac_f16_e32 v55, v60, v34
	v_mul_f16_e32 v33, v66, v63
	v_mul_f16_e32 v34, v43, v63
	s_wait_dscnt 0xd
	v_lshrrev_b32_e32 v60, 16, v47
	v_lshrrev_b32_e32 v64, 16, v45
	s_wait_dscnt 0xb
	v_lshrrev_b32_e32 v69, 16, v49
	v_fma_f16 v30, v32, v30, -v68
	v_fmac_f16_e32 v59, v32, v28
	v_mul_f16_e32 v28, v55, v65
	v_mul_f16_e32 v32, v31, v65
	v_fma_f16 v33, v43, v44, -v33
	v_fmac_f16_e32 v34, v66, v44
	v_mul_f16_e32 v43, v67, v60
	v_mul_f16_e32 v44, v46, v60
	s_wait_dscnt 0xa
	v_lshrrev_b32_e32 v60, 16, v50
	v_lshrrev_b32_e32 v63, 16, v48
	s_wait_dscnt 0x8
	v_lshrrev_b32_e32 v66, 16, v52
	v_fma_f16 v28, v35, v31, -v28
	v_fmac_f16_e32 v32, v35, v55
	v_mul_f16_e32 v31, v34, v64
	v_mul_f16_e32 v35, v33, v64
	v_fma_f16 v43, v46, v47, -v43
	v_fmac_f16_e32 v44, v67, v47
	v_mul_f16_e32 v46, v69, v60
	v_mul_f16_e32 v47, v49, v60
	s_wait_dscnt 0x7
	v_lshrrev_b32_e32 v55, 16, v53
	v_lshrrev_b32_e32 v65, 16, v51
	v_fma_f16 v31, v45, v33, -v31
	v_fmac_f16_e32 v35, v45, v34
	v_mul_f16_e32 v33, v44, v63
	v_mul_f16_e32 v34, v43, v63
	v_fma_f16 v45, v49, v50, -v46
	v_fmac_f16_e32 v47, v69, v50
	v_mul_f16_e32 v46, v66, v55
	s_wait_dscnt 0x5
	v_lshrrev_b32_e32 v64, 16, v56
	v_mul_f16_e32 v49, v52, v55
	s_wait_dscnt 0x4
	v_lshrrev_b32_e32 v50, 16, v57
	s_wait_dscnt 0x2
	v_lshrrev_b32_e32 v63, 16, v61
	v_fma_f16 v33, v48, v43, -v33
	v_fmac_f16_e32 v34, v48, v44
	v_mul_f16_e32 v43, v47, v65
	v_mul_f16_e32 v44, v45, v65
	v_fma_f16 v46, v52, v53, -v46
	s_wait_dscnt 0x1
	v_lshrrev_b32_e32 v52, 16, v62
	v_lshrrev_b32_e32 v60, 16, v54
	v_fmac_f16_e32 v49, v66, v53
	v_mul_f16_e32 v48, v64, v50
	v_mul_f16_e32 v50, v56, v50
	v_fma_f16 v43, v51, v45, -v43
	v_fmac_f16_e32 v44, v51, v47
	v_mul_f16_e32 v47, v61, v52
	v_mul_f16_e32 v51, v63, v52
	v_lshrrev_b32_e32 v55, 16, v58
	s_wait_dscnt 0x0
	v_lshrrev_b32_e32 v53, 16, v7
	v_mul_f16_e32 v45, v49, v60
	v_fmac_f16_e32 v50, v64, v57
	v_fma_f16 v48, v56, v57, -v48
	v_fmac_f16_e32 v47, v63, v62
	v_fma_f16 v51, v61, v62, -v51
	v_mul_f16_e32 v52, v46, v60
	v_fma_f16 v45, v54, v46, -v45
	v_mul_f16_e32 v46, v50, v55
	v_mul_f16_e32 v55, v48, v55
	;; [unrolled: 1-line block ×4, first 2 shown]
	v_lshrrev_b32_e32 v36, 16, v27
	v_lshrrev_b32_e32 v37, 16, v21
	;; [unrolled: 1-line block ×6, first 2 shown]
	v_fmac_f16_e32 v52, v54, v49
	v_fma_f16 v46, v58, v48, -v46
	v_fmac_f16_e32 v55, v58, v50
	v_fma_f16 v48, v7, v51, -v56
	v_fmac_f16_e32 v53, v7, v47
	v_lshrrev_b32_e32 v42, 16, v20
	global_wb scope:SCOPE_SE
	s_wait_loadcnt 0x0
	s_barrier_signal -1
	s_barrier_wait -1
	global_inv scope:SCOPE_SE
	v_lshrrev_b32_e32 v7, 16, v0
	v_lshrrev_b32_e32 v47, 16, v1
	;; [unrolled: 1-line block ×7, first 2 shown]
	v_mul_f16_e32 v57, v7, v37
	v_mul_f16_e32 v7, v7, v21
	;; [unrolled: 1-line block ×14, first 2 shown]
	v_fma_f16 v21, v0, v21, -v57
	v_fmac_f16_e32 v7, v0, v37
	v_fma_f16 v0, v1, v22, -v58
	v_fmac_f16_e32 v47, v1, v38
	;; [unrolled: 2-line block ×7, first 2 shown]
	v_sub_f16_e32 v2, v20, v2
	v_sub_f16_e32 v6, v42, v50
	;; [unrolled: 1-line block ×8, first 2 shown]
	v_fma_f16 v20, v20, 2.0, -v2
	v_fma_f16 v25, v42, 2.0, -v6
	;; [unrolled: 1-line block ×8, first 2 shown]
	v_sub_f16_e32 v22, v2, v22
	v_add_f16_e32 v4, v6, v4
	v_sub_f16_e32 v24, v3, v24
	v_add_f16_e32 v5, v23, v5
	v_sub_f16_e32 v0, v20, v0
	v_sub_f16_e32 v26, v25, v26
	v_fma_f16 v2, v2, 2.0, -v22
	v_fma_f16 v6, v6, 2.0, -v4
	v_sub_f16_e32 v1, v21, v1
	v_sub_f16_e32 v27, v7, v27
	v_fma_f16 v3, v3, 2.0, -v24
	v_fma_f16 v23, v23, 2.0, -v5
	v_fmamk_f16 v29, v24, 0x39a8, v22
	v_fmamk_f16 v36, v5, 0x39a8, v4
	v_fma_f16 v20, v20, 2.0, -v0
	v_fma_f16 v25, v25, 2.0, -v26
	;; [unrolled: 1-line block ×4, first 2 shown]
	v_fmamk_f16 v37, v3, 0xb9a8, v2
	v_fmamk_f16 v38, v23, 0xb9a8, v6
	v_sub_f16_e32 v27, v0, v27
	v_add_f16_e32 v1, v26, v1
	v_fmac_f16_e32 v29, 0xb9a8, v5
	v_fmac_f16_e32 v36, 0x39a8, v24
	v_sub_f16_e32 v5, v20, v21
	v_sub_f16_e32 v7, v25, v7
	v_fmac_f16_e32 v37, 0xb9a8, v23
	v_fmac_f16_e32 v38, 0x39a8, v3
	v_fma_f16 v0, v0, 2.0, -v27
	v_fma_f16 v3, v26, 2.0, -v1
	;; [unrolled: 1-line block ×4, first 2 shown]
	v_mul_f16_e32 v22, v1, v55
	v_mul_f16_e32 v23, v27, v55
	;; [unrolled: 1-line block ×3, first 2 shown]
	v_fma_f16 v20, v20, 2.0, -v5
	v_fma_f16 v25, v25, 2.0, -v7
	;; [unrolled: 1-line block ×4, first 2 shown]
	v_mul_f16_e32 v26, v29, v53
	v_mul_f16_e32 v39, v3, v35
	;; [unrolled: 1-line block ×9, first 2 shown]
	v_fma_f16 v22, v27, v46, -v22
	v_fmac_f16_e32 v23, v1, v46
	v_fma_f16 v1, v29, v48, -v24
	v_mul_f16_e32 v24, v25, v59
	v_mul_f16_e32 v27, v20, v59
	;; [unrolled: 1-line block ×4, first 2 shown]
	v_fmac_f16_e32 v26, v36, v48
	v_fma_f16 v0, v0, v31, -v39
	v_fmac_f16_e32 v35, v3, v31
	v_fma_f16 v3, v21, v33, -v40
	;; [unrolled: 2-line block ×6, first 2 shown]
	v_fmac_f16_e32 v32, v6, v28
	v_pack_b32_f16 v7, v22, v23
	v_pack_b32_f16 v1, v1, v26
	;; [unrolled: 1-line block ×8, first 2 shown]
	ds_store_2addr_b32 v19, v7, v1 offset0:60 offset1:70
	ds_store_2addr_b32 v19, v0, v3 offset0:20 offset1:30
	ds_store_2addr_b32 v19, v4, v5 offset0:40 offset1:50
	ds_store_2addr_b32 v19, v6, v2 offset1:10
	global_wb scope:SCOPE_SE
	s_wait_dscnt 0x0
	s_barrier_signal -1
	s_barrier_wait -1
	global_inv scope:SCOPE_SE
	s_and_saveexec_b32 s9, s8
	s_cbranch_execz .LBB0_21
; %bb.20:
	v_mad_co_u64_u32 v[0:1], null, s2, v16, 0
	v_mad_co_u64_u32 v[2:3], null, s0, v15, 0
	v_add3_u32 v24, 0, v17, v18
	s_mul_u64 s[6:7], s[6:7], s[20:21]
	s_lshl_b64 s[4:5], s[4:5], 2
	v_mad_co_u64_u32 v[22:23], null, s0, v9, 0
	ds_load_2addr_b32 v[18:19], v24 offset1:10
	v_mad_co_u64_u32 v[4:5], null, s3, v16, v[1:2]
	v_mad_co_u64_u32 v[5:6], null, s0, v14, 0
	s_wait_alu 0xfffe
	s_lshl_b64 s[2:3], s[6:7], 2
	s_wait_alu 0xfffe
	s_add_nc_u64 s[2:3], s[14:15], s[2:3]
	s_delay_alu instid0(VALU_DEP_2) | instskip(NEXT) | instid1(VALU_DEP_2)
	v_mad_co_u64_u32 v[15:16], null, s1, v15, v[3:4]
	v_dual_mov_b32 v1, v4 :: v_dual_mov_b32 v4, v6
	v_mad_co_u64_u32 v[16:17], null, s0, v13, 0
	s_wait_alu 0xfffe
	s_add_nc_u64 s[2:3], s[2:3], s[4:5]
	s_delay_alu instid0(VALU_DEP_2) | instskip(NEXT) | instid1(VALU_DEP_2)
	v_lshlrev_b64_e32 v[0:1], 2, v[0:1]
	v_dual_mov_b32 v3, v15 :: v_dual_mov_b32 v6, v17
	s_delay_alu instid0(VALU_DEP_1) | instskip(SKIP_1) | instid1(VALU_DEP_3)
	v_lshlrev_b64_e32 v[2:3], 2, v[2:3]
	s_wait_alu 0xfffe
	v_add_co_u32 v25, vcc_lo, s2, v0
	s_wait_alu 0xfffd
	v_add_co_ci_u32_e32 v26, vcc_lo, s3, v1, vcc_lo
	v_mad_co_u64_u32 v[0:1], null, s1, v14, v[4:5]
	s_delay_alu instid0(VALU_DEP_3) | instskip(SKIP_1) | instid1(VALU_DEP_3)
	v_add_co_u32 v1, vcc_lo, v25, v2
	s_wait_alu 0xfffd
	v_add_co_ci_u32_e32 v2, vcc_lo, v26, v3, vcc_lo
	v_mad_co_u64_u32 v[3:4], null, s1, v13, v[6:7]
	v_mad_co_u64_u32 v[13:14], null, s0, v12, 0
	v_mov_b32_e32 v6, v0
	s_wait_dscnt 0x0
	global_store_b32 v[1:2], v18, off
	v_mov_b32_e32 v17, v3
	v_mad_co_u64_u32 v[3:4], null, s0, v11, 0
	v_mov_b32_e32 v2, v14
	v_lshlrev_b64_e32 v[0:1], 2, v[5:6]
	s_delay_alu instid0(VALU_DEP_4)
	v_lshlrev_b64_e32 v[14:15], 2, v[16:17]
	ds_load_2addr_b32 v[5:6], v24 offset0:20 offset1:30
	v_mad_co_u64_u32 v[16:17], null, s1, v12, v[2:3]
	v_mad_co_u64_u32 v[17:18], null, s0, v10, 0
	v_mov_b32_e32 v2, v4
	v_add_co_u32 v0, vcc_lo, v25, v0
	s_wait_alu 0xfffd
	v_add_co_ci_u32_e32 v1, vcc_lo, v26, v1, vcc_lo
	s_delay_alu instid0(VALU_DEP_3)
	v_mad_co_u64_u32 v[11:12], null, s1, v11, v[2:3]
	v_mov_b32_e32 v2, v18
	v_add_co_u32 v20, vcc_lo, v25, v14
	s_wait_alu 0xfffd
	v_add_co_ci_u32_e32 v21, vcc_lo, v26, v15, vcc_lo
	v_mov_b32_e32 v14, v16
	v_mad_co_u64_u32 v[15:16], null, s1, v10, v[2:3]
	v_mov_b32_e32 v4, v11
	v_mad_co_u64_u32 v[10:11], null, s0, v8, 0
	v_mov_b32_e32 v2, v23
	global_store_b32 v[0:1], v19, off
	s_wait_dscnt 0x0
	global_store_b32 v[20:21], v5, off
	v_lshlrev_b64_e32 v[0:1], 2, v[13:14]
	v_mov_b32_e32 v18, v15
	v_mad_co_u64_u32 v[12:13], null, s1, v9, v[2:3]
	v_lshlrev_b64_e32 v[3:4], 2, v[3:4]
	v_mov_b32_e32 v2, v11
	ds_load_2addr_b32 v[13:14], v24 offset0:40 offset1:50
	v_add_co_u32 v0, vcc_lo, v25, v0
	s_wait_alu 0xfffd
	v_add_co_ci_u32_e32 v1, vcc_lo, v26, v1, vcc_lo
	v_mad_co_u64_u32 v[7:8], null, s1, v8, v[2:3]
	v_mov_b32_e32 v23, v12
	ds_load_2addr_b32 v[8:9], v24 offset0:60 offset1:70
	v_lshlrev_b64_e32 v[15:16], 2, v[17:18]
	v_add_co_u32 v2, vcc_lo, v25, v3
	s_wait_alu 0xfffd
	v_add_co_ci_u32_e32 v3, vcc_lo, v26, v4, vcc_lo
	v_mov_b32_e32 v11, v7
	v_lshlrev_b64_e32 v[4:5], 2, v[22:23]
	v_add_co_u32 v15, vcc_lo, v25, v15
	s_wait_alu 0xfffd
	v_add_co_ci_u32_e32 v16, vcc_lo, v26, v16, vcc_lo
	v_lshlrev_b64_e32 v[10:11], 2, v[10:11]
	s_delay_alu instid0(VALU_DEP_4) | instskip(SKIP_2) | instid1(VALU_DEP_3)
	v_add_co_u32 v4, vcc_lo, v25, v4
	s_wait_alu 0xfffd
	v_add_co_ci_u32_e32 v5, vcc_lo, v26, v5, vcc_lo
	v_add_co_u32 v10, vcc_lo, v25, v10
	s_wait_alu 0xfffd
	v_add_co_ci_u32_e32 v11, vcc_lo, v26, v11, vcc_lo
	global_store_b32 v[0:1], v6, off
	s_wait_dscnt 0x1
	s_clause 0x1
	global_store_b32 v[2:3], v13, off
	global_store_b32 v[15:16], v14, off
	s_wait_dscnt 0x0
	s_clause 0x1
	global_store_b32 v[4:5], v8, off
	global_store_b32 v[10:11], v9, off
.LBB0_21:
	s_nop 0
	s_sendmsg sendmsg(MSG_DEALLOC_VGPRS)
	s_endpgm
	.section	.rodata,"a",@progbits
	.p2align	6, 0x0
	.amdhsa_kernel fft_rtc_fwd_len80_factors_10_8_wgs_160_tpt_10_half_op_CI_CI_sbcc_twdbase6_3step
		.amdhsa_group_segment_fixed_size 0
		.amdhsa_private_segment_fixed_size 0
		.amdhsa_kernarg_size 112
		.amdhsa_user_sgpr_count 2
		.amdhsa_user_sgpr_dispatch_ptr 0
		.amdhsa_user_sgpr_queue_ptr 0
		.amdhsa_user_sgpr_kernarg_segment_ptr 1
		.amdhsa_user_sgpr_dispatch_id 0
		.amdhsa_user_sgpr_private_segment_size 0
		.amdhsa_wavefront_size32 1
		.amdhsa_uses_dynamic_stack 0
		.amdhsa_enable_private_segment 0
		.amdhsa_system_sgpr_workgroup_id_x 1
		.amdhsa_system_sgpr_workgroup_id_y 0
		.amdhsa_system_sgpr_workgroup_id_z 0
		.amdhsa_system_sgpr_workgroup_info 0
		.amdhsa_system_vgpr_workitem_id 0
		.amdhsa_next_free_vgpr 70
		.amdhsa_next_free_sgpr 61
		.amdhsa_reserve_vcc 1
		.amdhsa_float_round_mode_32 0
		.amdhsa_float_round_mode_16_64 0
		.amdhsa_float_denorm_mode_32 3
		.amdhsa_float_denorm_mode_16_64 3
		.amdhsa_fp16_overflow 0
		.amdhsa_workgroup_processor_mode 1
		.amdhsa_memory_ordered 1
		.amdhsa_forward_progress 0
		.amdhsa_round_robin_scheduling 0
		.amdhsa_exception_fp_ieee_invalid_op 0
		.amdhsa_exception_fp_denorm_src 0
		.amdhsa_exception_fp_ieee_div_zero 0
		.amdhsa_exception_fp_ieee_overflow 0
		.amdhsa_exception_fp_ieee_underflow 0
		.amdhsa_exception_fp_ieee_inexact 0
		.amdhsa_exception_int_div_zero 0
	.end_amdhsa_kernel
	.text
.Lfunc_end0:
	.size	fft_rtc_fwd_len80_factors_10_8_wgs_160_tpt_10_half_op_CI_CI_sbcc_twdbase6_3step, .Lfunc_end0-fft_rtc_fwd_len80_factors_10_8_wgs_160_tpt_10_half_op_CI_CI_sbcc_twdbase6_3step
                                        ; -- End function
	.section	.AMDGPU.csdata,"",@progbits
; Kernel info:
; codeLenInByte = 6156
; NumSgprs: 63
; NumVgprs: 70
; ScratchSize: 0
; MemoryBound: 0
; FloatMode: 240
; IeeeMode: 1
; LDSByteSize: 0 bytes/workgroup (compile time only)
; SGPRBlocks: 7
; VGPRBlocks: 8
; NumSGPRsForWavesPerEU: 63
; NumVGPRsForWavesPerEU: 70
; Occupancy: 15
; WaveLimiterHint : 1
; COMPUTE_PGM_RSRC2:SCRATCH_EN: 0
; COMPUTE_PGM_RSRC2:USER_SGPR: 2
; COMPUTE_PGM_RSRC2:TRAP_HANDLER: 0
; COMPUTE_PGM_RSRC2:TGID_X_EN: 1
; COMPUTE_PGM_RSRC2:TGID_Y_EN: 0
; COMPUTE_PGM_RSRC2:TGID_Z_EN: 0
; COMPUTE_PGM_RSRC2:TIDIG_COMP_CNT: 0
	.text
	.p2alignl 7, 3214868480
	.fill 96, 4, 3214868480
	.type	__hip_cuid_86495229ced3b5ed,@object ; @__hip_cuid_86495229ced3b5ed
	.section	.bss,"aw",@nobits
	.globl	__hip_cuid_86495229ced3b5ed
__hip_cuid_86495229ced3b5ed:
	.byte	0                               ; 0x0
	.size	__hip_cuid_86495229ced3b5ed, 1

	.ident	"AMD clang version 19.0.0git (https://github.com/RadeonOpenCompute/llvm-project roc-6.4.0 25133 c7fe45cf4b819c5991fe208aaa96edf142730f1d)"
	.section	".note.GNU-stack","",@progbits
	.addrsig
	.addrsig_sym __hip_cuid_86495229ced3b5ed
	.amdgpu_metadata
---
amdhsa.kernels:
  - .args:
      - .actual_access:  read_only
        .address_space:  global
        .offset:         0
        .size:           8
        .value_kind:     global_buffer
      - .address_space:  global
        .offset:         8
        .size:           8
        .value_kind:     global_buffer
      - .offset:         16
        .size:           8
        .value_kind:     by_value
      - .actual_access:  read_only
        .address_space:  global
        .offset:         24
        .size:           8
        .value_kind:     global_buffer
      - .actual_access:  read_only
        .address_space:  global
        .offset:         32
        .size:           8
        .value_kind:     global_buffer
      - .actual_access:  read_only
        .address_space:  global
        .offset:         40
        .size:           8
        .value_kind:     global_buffer
      - .offset:         48
        .size:           8
        .value_kind:     by_value
      - .actual_access:  read_only
        .address_space:  global
        .offset:         56
        .size:           8
        .value_kind:     global_buffer
      - .actual_access:  read_only
        .address_space:  global
        .offset:         64
        .size:           8
        .value_kind:     global_buffer
      - .offset:         72
        .size:           4
        .value_kind:     by_value
      - .actual_access:  read_only
        .address_space:  global
        .offset:         80
        .size:           8
        .value_kind:     global_buffer
      - .actual_access:  read_only
        .address_space:  global
        .offset:         88
        .size:           8
        .value_kind:     global_buffer
      - .actual_access:  read_only
        .address_space:  global
        .offset:         96
        .size:           8
        .value_kind:     global_buffer
      - .actual_access:  write_only
        .address_space:  global
        .offset:         104
        .size:           8
        .value_kind:     global_buffer
    .group_segment_fixed_size: 0
    .kernarg_segment_align: 8
    .kernarg_segment_size: 112
    .language:       OpenCL C
    .language_version:
      - 2
      - 0
    .max_flat_workgroup_size: 160
    .name:           fft_rtc_fwd_len80_factors_10_8_wgs_160_tpt_10_half_op_CI_CI_sbcc_twdbase6_3step
    .private_segment_fixed_size: 0
    .sgpr_count:     63
    .sgpr_spill_count: 0
    .symbol:         fft_rtc_fwd_len80_factors_10_8_wgs_160_tpt_10_half_op_CI_CI_sbcc_twdbase6_3step.kd
    .uniform_work_group_size: 1
    .uses_dynamic_stack: false
    .vgpr_count:     70
    .vgpr_spill_count: 0
    .wavefront_size: 32
    .workgroup_processor_mode: 1
amdhsa.target:   amdgcn-amd-amdhsa--gfx1201
amdhsa.version:
  - 1
  - 2
...

	.end_amdgpu_metadata
